;; amdgpu-corpus repo=ROCm/rocFFT kind=compiled arch=gfx950 opt=O3
	.text
	.amdgcn_target "amdgcn-amd-amdhsa--gfx950"
	.amdhsa_code_object_version 6
	.protected	fft_rtc_fwd_len104_factors_13_8_wgs_64_tpt_8_halfLds_half_op_CI_CI_unitstride_sbrr_dirReg ; -- Begin function fft_rtc_fwd_len104_factors_13_8_wgs_64_tpt_8_halfLds_half_op_CI_CI_unitstride_sbrr_dirReg
	.globl	fft_rtc_fwd_len104_factors_13_8_wgs_64_tpt_8_halfLds_half_op_CI_CI_unitstride_sbrr_dirReg
	.p2align	8
	.type	fft_rtc_fwd_len104_factors_13_8_wgs_64_tpt_8_halfLds_half_op_CI_CI_unitstride_sbrr_dirReg,@function
fft_rtc_fwd_len104_factors_13_8_wgs_64_tpt_8_halfLds_half_op_CI_CI_unitstride_sbrr_dirReg: ; @fft_rtc_fwd_len104_factors_13_8_wgs_64_tpt_8_halfLds_half_op_CI_CI_unitstride_sbrr_dirReg
; %bb.0:
	s_load_dwordx4 s[8:11], s[0:1], 0x58
	s_load_dwordx4 s[4:7], s[0:1], 0x0
	;; [unrolled: 1-line block ×3, first 2 shown]
	v_lshrrev_b32_e32 v12, 3, v0
	v_lshl_or_b32 v10, s2, 3, v12
	v_mov_b32_e32 v8, 0
	s_waitcnt lgkmcnt(0)
	v_cmp_lt_u64_e64 s[2:3], s[6:7], 2
	v_mov_b32_e32 v11, v8
	s_and_b64 vcc, exec, s[2:3]
	v_mov_b64_e32 v[6:7], 0
	s_cbranch_vccnz .LBB0_8
; %bb.1:
	s_load_dwordx2 s[2:3], s[0:1], 0x10
	s_add_u32 s16, s14, 8
	s_addc_u32 s17, s15, 0
	s_add_u32 s18, s12, 8
	s_addc_u32 s19, s13, 0
	s_waitcnt lgkmcnt(0)
	s_add_u32 s20, s2, 8
	v_mov_b64_e32 v[6:7], 0
	s_addc_u32 s21, s3, 0
	s_mov_b64 s[22:23], 1
	v_mov_b64_e32 v[2:3], v[6:7]
.LBB0_2:                                ; =>This Inner Loop Header: Depth=1
	s_load_dwordx2 s[24:25], s[20:21], 0x0
                                        ; implicit-def: $vgpr4_vgpr5
	s_waitcnt lgkmcnt(0)
	v_or_b32_e32 v9, s25, v11
	v_cmp_ne_u64_e32 vcc, 0, v[8:9]
	s_and_saveexec_b64 s[2:3], vcc
	s_xor_b64 s[26:27], exec, s[2:3]
	s_cbranch_execz .LBB0_4
; %bb.3:                                ;   in Loop: Header=BB0_2 Depth=1
	v_cvt_f32_u32_e32 v1, s24
	v_cvt_f32_u32_e32 v4, s25
	s_sub_u32 s2, 0, s24
	s_subb_u32 s3, 0, s25
	v_fmac_f32_e32 v1, 0x4f800000, v4
	v_rcp_f32_e32 v1, v1
	s_nop 0
	v_mul_f32_e32 v1, 0x5f7ffffc, v1
	v_mul_f32_e32 v4, 0x2f800000, v1
	v_trunc_f32_e32 v4, v4
	v_fmac_f32_e32 v1, 0xcf800000, v4
	v_cvt_u32_f32_e32 v9, v4
	v_cvt_u32_f32_e32 v1, v1
	v_mul_lo_u32 v4, s2, v9
	v_mul_hi_u32 v13, s2, v1
	v_mul_lo_u32 v5, s3, v1
	v_add_u32_e32 v13, v13, v4
	v_mul_lo_u32 v16, s2, v1
	v_add_u32_e32 v13, v13, v5
	v_mul_hi_u32 v4, v1, v16
	v_mul_hi_u32 v15, v1, v13
	v_mul_lo_u32 v14, v1, v13
	v_mov_b32_e32 v5, v8
	v_lshl_add_u64 v[4:5], v[4:5], 0, v[14:15]
	v_mul_hi_u32 v15, v9, v16
	v_mul_lo_u32 v16, v9, v16
	v_add_co_u32_e32 v4, vcc, v4, v16
	v_mul_hi_u32 v14, v9, v13
	s_nop 0
	v_addc_co_u32_e32 v4, vcc, v5, v15, vcc
	v_mov_b32_e32 v5, v8
	s_nop 0
	v_addc_co_u32_e32 v15, vcc, 0, v14, vcc
	v_mul_lo_u32 v14, v9, v13
	v_lshl_add_u64 v[4:5], v[4:5], 0, v[14:15]
	v_add_co_u32_e32 v1, vcc, v1, v4
	v_mul_lo_u32 v14, s2, v1
	s_nop 0
	v_addc_co_u32_e32 v9, vcc, v9, v5, vcc
	v_mul_lo_u32 v4, s2, v9
	v_mul_hi_u32 v5, s2, v1
	v_add_u32_e32 v4, v5, v4
	v_mul_lo_u32 v5, s3, v1
	v_add_u32_e32 v13, v4, v5
	v_mul_hi_u32 v17, v9, v14
	v_mul_lo_u32 v18, v9, v14
	v_mul_hi_u32 v5, v1, v13
	v_mul_lo_u32 v4, v1, v13
	v_mul_hi_u32 v14, v1, v14
	v_mov_b32_e32 v15, v8
	v_lshl_add_u64 v[4:5], v[14:15], 0, v[4:5]
	v_add_co_u32_e32 v4, vcc, v4, v18
	v_mul_hi_u32 v16, v9, v13
	s_nop 0
	v_addc_co_u32_e32 v4, vcc, v5, v17, vcc
	v_mul_lo_u32 v14, v9, v13
	s_nop 0
	v_addc_co_u32_e32 v15, vcc, 0, v16, vcc
	v_mov_b32_e32 v5, v8
	v_lshl_add_u64 v[4:5], v[4:5], 0, v[14:15]
	v_add_co_u32_e32 v1, vcc, v1, v4
	v_mul_hi_u32 v14, v10, v1
	s_nop 0
	v_addc_co_u32_e32 v9, vcc, v9, v5, vcc
	v_mad_u64_u32 v[4:5], s[2:3], v10, v9, 0
	v_mov_b32_e32 v15, v8
	v_lshl_add_u64 v[4:5], v[14:15], 0, v[4:5]
	v_mad_u64_u32 v[16:17], s[2:3], v11, v1, 0
	v_add_co_u32_e32 v1, vcc, v4, v16
	v_mad_u64_u32 v[14:15], s[2:3], v11, v9, 0
	s_nop 0
	v_addc_co_u32_e32 v4, vcc, v5, v17, vcc
	v_mov_b32_e32 v5, v8
	s_nop 0
	v_addc_co_u32_e32 v15, vcc, 0, v15, vcc
	v_lshl_add_u64 v[4:5], v[4:5], 0, v[14:15]
	v_mul_lo_u32 v1, s25, v4
	v_mul_lo_u32 v9, s24, v5
	v_mad_u64_u32 v[14:15], s[2:3], s24, v4, 0
	v_add3_u32 v1, v15, v9, v1
	v_sub_u32_e32 v9, v11, v1
	v_mov_b32_e32 v13, s25
	v_sub_co_u32_e32 v18, vcc, v10, v14
	v_lshl_add_u64 v[16:17], v[4:5], 0, 1
	s_nop 0
	v_subb_co_u32_e64 v9, s[2:3], v9, v13, vcc
	v_subrev_co_u32_e64 v13, s[2:3], s24, v18
	v_subb_co_u32_e32 v1, vcc, v11, v1, vcc
	s_nop 0
	v_subbrev_co_u32_e64 v9, s[2:3], 0, v9, s[2:3]
	v_cmp_le_u32_e64 s[2:3], s25, v9
	v_cmp_le_u32_e32 vcc, s25, v1
	s_nop 0
	v_cndmask_b32_e64 v14, 0, -1, s[2:3]
	v_cmp_le_u32_e64 s[2:3], s24, v13
	s_nop 1
	v_cndmask_b32_e64 v13, 0, -1, s[2:3]
	v_cmp_eq_u32_e64 s[2:3], s25, v9
	s_nop 1
	v_cndmask_b32_e64 v9, v14, v13, s[2:3]
	v_lshl_add_u64 v[14:15], v[4:5], 0, 2
	v_cmp_ne_u32_e64 s[2:3], 0, v9
	v_cndmask_b32_e64 v13, 0, -1, vcc
	v_cmp_le_u32_e32 vcc, s24, v18
	v_cndmask_b32_e64 v9, v17, v15, s[2:3]
	s_nop 0
	v_cndmask_b32_e64 v15, 0, -1, vcc
	v_cmp_eq_u32_e32 vcc, s25, v1
	s_nop 1
	v_cndmask_b32_e32 v1, v13, v15, vcc
	v_cmp_ne_u32_e32 vcc, 0, v1
	v_cndmask_b32_e64 v1, v16, v14, s[2:3]
	s_nop 0
	v_cndmask_b32_e32 v5, v5, v9, vcc
	v_cndmask_b32_e32 v4, v4, v1, vcc
.LBB0_4:                                ;   in Loop: Header=BB0_2 Depth=1
	s_andn2_saveexec_b64 s[2:3], s[26:27]
	s_cbranch_execz .LBB0_6
; %bb.5:                                ;   in Loop: Header=BB0_2 Depth=1
	v_cvt_f32_u32_e32 v1, s24
	s_sub_i32 s26, 0, s24
	v_rcp_iflag_f32_e32 v1, v1
	s_nop 0
	v_mul_f32_e32 v1, 0x4f7ffffe, v1
	v_cvt_u32_f32_e32 v1, v1
	v_mul_lo_u32 v4, s26, v1
	v_mul_hi_u32 v4, v1, v4
	v_add_u32_e32 v1, v1, v4
	v_mul_hi_u32 v1, v10, v1
	v_mul_lo_u32 v4, v1, s24
	v_sub_u32_e32 v4, v10, v4
	v_add_u32_e32 v5, 1, v1
	v_subrev_u32_e32 v9, s24, v4
	v_cmp_le_u32_e32 vcc, s24, v4
	s_nop 1
	v_cndmask_b32_e32 v4, v4, v9, vcc
	v_cndmask_b32_e32 v1, v1, v5, vcc
	v_add_u32_e32 v5, 1, v1
	v_cmp_le_u32_e32 vcc, s24, v4
	s_nop 1
	v_cndmask_b32_e32 v4, v1, v5, vcc
	v_mov_b32_e32 v5, v8
.LBB0_6:                                ;   in Loop: Header=BB0_2 Depth=1
	s_or_b64 exec, exec, s[2:3]
	v_mad_u64_u32 v[14:15], s[2:3], v4, s24, 0
	s_load_dwordx2 s[2:3], s[18:19], 0x0
	v_mul_lo_u32 v1, v5, s24
	v_mul_lo_u32 v9, v4, s25
	s_load_dwordx2 s[24:25], s[16:17], 0x0
	s_add_u32 s22, s22, 1
	v_add3_u32 v1, v15, v9, v1
	v_sub_co_u32_e32 v9, vcc, v10, v14
	s_addc_u32 s23, s23, 0
	s_nop 0
	v_subb_co_u32_e32 v1, vcc, v11, v1, vcc
	s_add_u32 s16, s16, 8
	s_waitcnt lgkmcnt(0)
	v_mul_lo_u32 v10, s2, v1
	v_mul_lo_u32 v11, s3, v9
	v_mad_u64_u32 v[6:7], s[2:3], s2, v9, v[6:7]
	s_addc_u32 s17, s17, 0
	v_add3_u32 v7, v11, v7, v10
	v_mul_lo_u32 v1, s24, v1
	v_mul_lo_u32 v10, s25, v9
	v_mad_u64_u32 v[2:3], s[2:3], s24, v9, v[2:3]
	s_add_u32 s18, s18, 8
	v_add3_u32 v3, v10, v3, v1
	s_addc_u32 s19, s19, 0
	v_mov_b64_e32 v[10:11], s[6:7]
	s_add_u32 s20, s20, 8
	v_cmp_ge_u64_e32 vcc, s[22:23], v[10:11]
	s_addc_u32 s21, s21, 0
	s_cbranch_vccnz .LBB0_9
; %bb.7:                                ;   in Loop: Header=BB0_2 Depth=1
	v_mov_b64_e32 v[10:11], v[4:5]
	s_branch .LBB0_2
.LBB0_8:
	v_mov_b64_e32 v[2:3], v[6:7]
	v_mov_b64_e32 v[4:5], v[10:11]
.LBB0_9:
	s_load_dwordx2 s[0:1], s[0:1], 0x28
	s_lshl_b64 s[6:7], s[6:7], 3
	s_add_u32 s2, s14, s6
	s_addc_u32 s3, s15, s7
	v_and_b32_e32 v10, 7, v0
	s_waitcnt lgkmcnt(0)
	v_cmp_gt_u64_e32 vcc, s[0:1], v[4:5]
	v_cmp_le_u64_e64 s[0:1], s[0:1], v[4:5]
                                        ; implicit-def: $sgpr14
                                        ; implicit-def: $vgpr9
	s_and_saveexec_b64 s[16:17], s[0:1]
	s_xor_b64 s[0:1], exec, s[16:17]
; %bb.10:
	v_and_b32_e32 v10, 7, v0
	v_or_b32_e32 v9, 8, v10
	s_mov_b32 s14, 0
                                        ; implicit-def: $vgpr6_vgpr7
; %bb.11:
	s_or_saveexec_b64 s[0:1], s[0:1]
	v_mov_b32_e32 v8, s14
                                        ; implicit-def: $vgpr36
                                        ; implicit-def: $vgpr27
                                        ; implicit-def: $vgpr35
                                        ; implicit-def: $vgpr25
                                        ; implicit-def: $vgpr33
                                        ; implicit-def: $vgpr24
                                        ; implicit-def: $vgpr32
                                        ; implicit-def: $vgpr23
                                        ; implicit-def: $vgpr31
                                        ; implicit-def: $vgpr21
                                        ; implicit-def: $vgpr19
                                        ; implicit-def: $vgpr20
                                        ; implicit-def: $vgpr17
                                        ; implicit-def: $vgpr22
                                        ; implicit-def: $vgpr18
                                        ; implicit-def: $vgpr26
                                        ; implicit-def: $vgpr16
                                        ; implicit-def: $vgpr30
                                        ; implicit-def: $vgpr15
                                        ; implicit-def: $vgpr34
                                        ; implicit-def: $vgpr14
                                        ; implicit-def: $vgpr37
                                        ; implicit-def: $vgpr13
                                        ; implicit-def: $vgpr38
	s_xor_b64 exec, exec, s[0:1]
	s_cbranch_execz .LBB0_13
; %bb.12:
	s_add_u32 s6, s12, s6
	s_addc_u32 s7, s13, s7
	s_load_dwordx2 s[6:7], s[6:7], 0x0
	v_lshlrev_b32_e32 v0, 2, v10
	s_waitcnt lgkmcnt(0)
	v_mul_lo_u32 v1, s7, v4
	v_mul_lo_u32 v11, s6, v5
	v_mad_u64_u32 v[8:9], s[6:7], s6, v4, 0
	v_add3_u32 v9, v9, v11, v1
	v_lshl_add_u64 v[8:9], v[8:9], 2, s[8:9]
	v_lshl_add_u64 v[6:7], v[6:7], 2, v[8:9]
	v_mov_b32_e32 v1, 0
	v_lshl_add_u64 v[0:1], v[6:7], 0, v[0:1]
	global_load_dword v27, v[0:1], off offset:32
	global_load_dword v25, v[0:1], off offset:64
	;; [unrolled: 1-line block ×12, first 2 shown]
	global_load_dword v8, v[0:1], off
	v_or_b32_e32 v9, 8, v10
	s_waitcnt vmcnt(12)
	v_lshrrev_b32_e32 v36, 16, v27
	s_waitcnt vmcnt(11)
	v_lshrrev_b32_e32 v35, 16, v25
	;; [unrolled: 2-line block ×12, first 2 shown]
.LBB0_13:
	s_or_b64 exec, exec, s[0:1]
	v_add_f16_e32 v6, v27, v38
	s_mov_b32 s28, 0x388b2fb7
	v_sub_f16_e32 v7, v36, v13
	v_add_f16_e32 v28, v25, v37
	v_pk_mul_f16 v47, v6, s28 op_sel_hi:[0,1]
	s_mov_b32 s30, 0xba95bbf1
	s_mov_b32 s26, 0xb5acbbc4
	v_sub_f16_e32 v29, v35, v14
	v_add_f16_e32 v39, v24, v34
	v_pk_fma_f16 v0, v7, s30, v47 op_sel_hi:[0,1,1]
	v_pk_mul_f16 v48, v28, s26 op_sel_hi:[0,1]
	s_mov_b32 s33, 0xbb7bb3a8
	s_mov_b32 s25, 0xbbc4b5ac
	v_sub_f16_e32 v40, v33, v15
	v_add_f16_e32 v41, v23, v30
	s_waitcnt vmcnt(0)
	v_pk_add_f16 v0, v0, v8 op_sel_hi:[1,0]
	v_pk_fma_f16 v1, v29, s33, v48 op_sel_hi:[0,1,1]
	v_pk_mul_f16 v49, v39, s25 op_sel_hi:[0,1]
	s_mov_b32 s31, 0xb3a83b7b
	s_mov_b32 s23, 0xb9fd3b15
	v_sub_f16_e32 v42, v32, v16
	v_add_f16_e32 v43, v21, v26
	v_pk_add_f16 v0, v1, v0
	v_pk_fma_f16 v1, v40, s31, v49 op_sel_hi:[0,1,1]
	v_pk_mul_f16 v50, v41, s23 op_sel_hi:[0,1]
	s_mov_b32 s29, 0x394e3770
	s_mov_b32 s15, 0x2fb7388b
	v_sub_f16_e32 v44, v31, v18
	v_pk_add_f16 v0, v1, v0
	v_pk_fma_f16 v1, v42, s29, v50 op_sel_hi:[0,1,1]
	v_pk_mul_f16 v51, v43, s15 op_sel_hi:[0,1]
	s_mov_b32 s27, 0x3bf1ba95
	s_mov_b32 s8, 0xb5acb9fd
	v_pk_add_f16 v0, v1, v0
	v_pk_fma_f16 v1, v44, s27, v51 op_sel_hi:[0,1,1]
	v_pk_mul_f16 v52, v6, s8 op_sel_hi:[0,1]
	s_mov_b32 s16, 0xbb7bb94e
	s_mov_b32 s9, 0xb9fd2fb7
	;; [unrolled: 5-line block ×3, first 2 shown]
	v_pk_add_f16 v1, v1, v8 op_sel_hi:[1,0]
	v_pk_fma_f16 v11, v29, s18, v53 op_sel_hi:[0,1,1]
	v_pk_mul_f16 v54, v39, s12 op_sel_hi:[0,1]
	s_mov_b32 s19, 0x3770ba95
	s_mov_b32 s13, 0x2fb7bbc4
	v_pk_add_f16 v1, v11, v1
	v_pk_fma_f16 v11, v40, s19, v54 op_sel_hi:[0,1,1]
	v_pk_mul_f16 v55, v41, s13 op_sel_hi:[0,1]
	s_mov_b32 s21, 0xbbf133a8
	s_mov_b32 s17, 0xbbc43b15
	v_add_f16_e32 v45, v20, v22
	s_mov_b32 s14, 0x3b15b9fd
	v_pk_add_f16 v1, v11, v1
	v_pk_fma_f16 v11, v42, s21, v55 op_sel_hi:[0,1,1]
	v_pk_mul_f16 v56, v43, s17 op_sel_hi:[0,1]
	s_mov_b32 s22, 0x33a83770
	v_sub_f16_e32 v46, v19, v17
	v_pk_add_f16 v1, v11, v1
	v_pk_fma_f16 v11, v44, s22, v56 op_sel_hi:[0,1,1]
	v_pk_mul_f16 v57, v45, s14 op_sel_hi:[0,1]
	s_mov_b32 s34, 0x3770b94e
	s_mov_b32 s20, 0x388bb5ac
	v_pk_add_f16 v11, v11, v1
	v_pk_fma_f16 v1, v46, s34, v57 op_sel_hi:[0,1,1]
	s_mov_b32 s24, 0x3a95bb7b
	v_pk_mul_f16 v58, v45, s20 op_sel_hi:[0,1]
	v_pk_add_f16 v1, v1, v0
	v_pk_fma_f16 v0, v46, s24, v58 op_sel_hi:[0,1,1]
	s_mov_b32 s0, 0xb770
	v_mul_f16_e32 v59, 0x3b15, v6
	v_pk_add_f16 v0, v0, v11
	v_fma_f16 v11, v7, s0, v59
	s_mov_b32 s1, 0xba95
	v_mul_f16_e32 v60, 0x388b, v28
	v_add_f16_e32 v11, v11, v8
	v_fma_f16 v61, v29, s1, v60
	v_add_f16_e32 v11, v61, v11
	s_movk_i32 s6, 0x33a8
	v_mul_f16_e32 v61, 0xbbc4, v6
	v_fma_f16 v62, v7, s6, v61
	s_mov_b32 s6, 0xb3a8
	v_mul_f16_e32 v63, 0x3b15, v28
	v_fma_f16 v61, v7, s6, v61
	s_movk_i32 s7, 0x3770
	v_fma_f16 v64, v29, s0, v63
	v_add_f16_e32 v61, v61, v8
	v_fma_f16 v63, v29, s7, v63
	v_add_f16_e32 v62, v62, v8
	v_add_f16_e32 v61, v63, v61
	s_mov_b32 s7, 0xbbf1
	v_mul_f16_e32 v63, 0x2fb7, v39
	v_add_f16_e32 v62, v64, v62
	v_fma_f16 v64, v40, s7, v63
	v_add_f16_e32 v11, v64, v11
	s_movk_i32 s35, 0x394e
	v_mul_f16_e32 v64, 0xb9fd, v39
	s_mov_b32 s36, 0xb94e
	v_fma_f16 v65, v40, s35, v64
	v_fma_f16 v64, v40, s36, v64
	v_add_f16_e32 v61, v64, v61
	s_mov_b32 s37, 0xbb7b
	v_mul_f16_e32 v64, 0xb5ac, v41
	v_add_f16_e32 v62, v65, v62
	v_fma_f16 v65, v42, s37, v64
	v_add_f16_e32 v11, v65, v11
	v_mul_f16_e32 v65, 0x388b, v41
	v_fma_f16 v52, v7, s35, v52
	v_fma_f16 v66, v42, s1, v65
	s_movk_i32 s1, 0x3a95
	v_add_f16_e32 v52, v52, v8
	v_fma_f16 v53, v29, s7, v53
	v_add_f16_e32 v52, v53, v52
	v_fma_f16 v53, v40, s1, v54
	;; [unrolled: 2-line block ×4, first 2 shown]
	s_mov_b32 s35, 0xffff
	v_mul_f16_e32 v55, 0xb770, v7
	v_pk_mul_f16 v56, v7, s30 op_sel_hi:[0,1]
	v_bfi_b32 v47, s35, v59, v47
	v_bfi_b32 v55, s35, v55, v56
	v_pk_add_f16 v47, v47, v55 neg_lo:[0,1] neg_hi:[0,1]
	v_mul_f16_e32 v55, 0xba95, v29
	v_pk_mul_f16 v56, v29, s33 op_sel_hi:[0,1]
	v_bfi_b32 v48, s35, v60, v48
	v_bfi_b32 v55, s35, v55, v56
	v_pk_add_f16 v48, v48, v55 neg_lo:[0,1] neg_hi:[0,1]
	v_pk_add_f16 v47, v47, v8 op_sel_hi:[1,0]
	v_fma_f16 v65, v42, s1, v65
	v_pk_add_f16 v47, v48, v47
	v_bfi_b32 v48, s35, v63, v49
	v_mul_f16_e32 v49, 0xbbf1, v40
	v_pk_mul_f16 v55, v40, s31 op_sel_hi:[0,1]
	v_add_f16_e32 v61, v65, v61
	v_mul_f16_e32 v65, 0xb9fd, v43
	v_bfi_b32 v49, s35, v49, v55
	v_add_f16_e32 v62, v66, v62
	v_fma_f16 v66, v44, s36, v65
	s_movk_i32 s36, 0x3b7b
	v_pk_add_f16 v48, v48, v49 neg_lo:[0,1] neg_hi:[0,1]
	v_add_f16_e32 v52, v53, v52
	v_fma_f16 v53, v46, s36, v58
	v_pk_add_f16 v47, v48, v47
	v_bfi_b32 v48, s35, v64, v50
	v_mul_f16_e32 v49, 0xbb7b, v42
	v_pk_mul_f16 v50, v42, s29 op_sel_hi:[0,1]
	v_add_f16_e32 v52, v53, v52
	v_mul_f16_e32 v53, 0x2fb7, v45
	s_movk_i32 s0, 0x3bf1
	v_bfi_b32 v49, s35, v49, v50
	s_mov_b32 s1, 0x3b7b3bf1
	v_fma_f16 v54, v46, s7, v53
	v_fma_f16 v53, v46, s0, v53
	v_pk_add_f16 v48, v48, v49 neg_lo:[0,1] neg_hi:[0,1]
	v_add_f16_e32 v49, v27, v8
	s_mov_b32 s0, 0xb5ac2fb7
	v_pk_mul_f16 v7, v7, s1 op_sel_hi:[0,1]
	s_mov_b32 s1, 0xb94e33a8
	v_add_f16_e32 v49, v25, v49
	v_pk_fma_f16 v6, v6, s0, v7 op_sel_hi:[0,1,1]
	s_mov_b32 s0, 0xb9fdbbc4
	v_pk_mul_f16 v7, v29, s1 op_sel_hi:[0,1]
	v_add_f16_e32 v49, v24, v49
	v_pk_add_f16 v6, v6, v8 op_sel_hi:[1,0]
	v_pk_fma_f16 v7, v28, s0, v7 op_sel_hi:[0,1,1]
	s_mov_b32 s1, 0xb770bb7b
	v_add_f16_e32 v49, v23, v49
	v_pk_add_f16 v6, v7, v6
	s_mov_b32 s0, 0x3b15b5ac
	v_pk_mul_f16 v7, v40, s1 op_sel_hi:[0,1]
	v_add_f16_e32 v49, v21, v49
	v_pk_fma_f16 v7, v39, s0, v7 op_sel_hi:[0,1,1]
	s_mov_b32 s1, 0x3bf1b770
	v_add_f16_e32 v49, v20, v49
	v_pk_add_f16 v6, v7, v6
	s_mov_b32 s0, 0x2fb73b15
	v_pk_mul_f16 v7, v42, s1 op_sel_hi:[0,1]
	v_add_f16_e32 v11, v66, v11
	v_mul_f16_e32 v66, 0xb5ac, v43
	v_add_f16_e32 v49, v22, v49
	v_pk_add_f16 v47, v48, v47
	v_mul_f16_e32 v48, 0xb94e, v44
	v_bfi_b32 v50, s35, v65, v51
	v_pk_mul_f16 v51, v44, s27 op_sel_hi:[0,1]
	v_pk_fma_f16 v7, v41, s0, v7 op_sel_hi:[0,1,1]
	s_mov_b32 s1, 0xb3a83a95
	v_fma_f16 v67, v44, s36, v66
	v_fma_f16 v66, v44, s37, v66
	v_add_f16_e32 v49, v26, v49
	v_bfi_b32 v48, s35, v48, v51
	v_pk_add_f16 v6, v7, v6
	s_mov_b32 s0, 0xbbc4388b
	v_pk_mul_f16 v7, v44, s1 op_sel_hi:[0,1]
	v_add_f16_e32 v61, v66, v61
	v_mul_f16_e32 v66, 0xbbc4, v45
	v_add_f16_e32 v49, v30, v49
	v_mul_f16_e32 v51, 0xb3a8, v46
	v_pk_add_f16 v48, v50, v48 neg_lo:[0,1] neg_hi:[0,1]
	v_pk_mul_f16 v50, v46, s34 op_sel_hi:[0,1]
	v_pk_fma_f16 v7, v43, s0, v7 op_sel_hi:[0,1,1]
	s_mov_b32 s1, 0xba95394e
	v_add_f16_e32 v49, v34, v49
	v_bfi_b32 v56, s35, v66, v57
	v_bfi_b32 v50, s35, v51, v50
	v_pk_add_f16 v6, v7, v6
	s_mov_b32 s0, 0x388bb9fd
	v_pk_mul_f16 v7, v46, s1 op_sel_hi:[0,1]
	v_add_f16_e32 v62, v67, v62
	v_mul_u32_u24_e32 v12, 0x68, v12
	v_add_f16_e32 v49, v37, v49
	v_pk_add_f16 v48, v48, v47
	v_pk_add_f16 v50, v56, v50 neg_lo:[0,1] neg_hi:[0,1]
	v_pk_fma_f16 v7, v45, s0, v7 op_sel_hi:[0,1,1]
	v_add_f16_e32 v54, v54, v62
	v_add_f16_e32 v53, v53, v61
	;; [unrolled: 1-line block ×3, first 2 shown]
	v_lshl_add_u32 v55, v12, 1, 0
	v_pk_add_f16 v48, v50, v48
	v_pk_add_f16 v6, v7, v6
	v_fma_f16 v67, v46, s6, v66
	v_mad_u32_u24 v47, v10, 26, v55
	v_pack_b32_f16 v43, v54, v53
	v_alignbit_b32 v42, v52, v6, 16
	v_alignbit_b32 v41, v6, v48, 16
	v_pack_b32_f16 v40, v49, v48
	v_lshl_add_u32 v51, v10, 1, v55
	s_movk_i32 s0, 0xffe8
	v_add_f16_e32 v11, v67, v11
	s_load_dwordx2 s[2:3], s[2:3], 0x0
	ds_write_b128 v47, v[40:43]
	ds_write_b64 v47, v[0:1] offset:16
	ds_write_b16 v47, v11 offset:24
	s_waitcnt lgkmcnt(0)
	; wave barrier
	s_waitcnt lgkmcnt(0)
	v_mad_i32_i24 v48, v10, s0, v47
	ds_read_u16 v39, v51
	ds_read_u16 v44, v48 offset:26
	ds_read_u16 v40, v48 offset:52
	;; [unrolled: 1-line block ×7, first 2 shown]
	s_movk_i32 s40, 0x3b15
	s_mov_b32 s37, 0xbbc4
	s_movk_i32 s39, 0x388b
	s_movk_i32 s36, 0x2fb7
	s_mov_b32 s38, 0xb9fd
	s_mov_b32 s41, 0xb5ac
	v_cmp_gt_u32_e64 s[0:1], 5, v10
	v_lshlrev_b32_e32 v49, 1, v9
	v_lshlrev_b32_e32 v50, 1, v12
                                        ; implicit-def: $vgpr12
                                        ; implicit-def: $vgpr28
                                        ; implicit-def: $vgpr29
	s_and_saveexec_b64 s[6:7], s[0:1]
	s_cbranch_execz .LBB0_15
; %bb.14:
	v_add3_u32 v0, 0, v49, v50
	ds_read_u16 v0, v0
	ds_read_u16 v1, v48 offset:42
	ds_read_u16 v6, v48 offset:68
	;; [unrolled: 1-line block ×7, first 2 shown]
	s_mov_b32 s42, 0x5040100
	s_waitcnt lgkmcnt(6)
	v_perm_b32 v0, v1, v0, s42
	s_waitcnt lgkmcnt(4)
	v_perm_b32 v1, v7, v6, s42
.LBB0_15:
	s_or_b64 exec, exec, s[6:7]
	v_sub_f16_e32 v27, v27, v38
	v_add_f16_sdwa v6, v36, v8 dst_sel:DWORD dst_unused:UNUSED_PAD src0_sel:DWORD src1_sel:WORD_1
	v_add_f16_e32 v36, v36, v13
	v_mul_f16_e32 v38, 0xb770, v27
	v_sub_f16_e32 v25, v25, v37
	v_add_f16_e32 v6, v35, v6
	v_fma_f16 v52, v36, s40, -v38
	v_add_f16_e32 v35, v35, v14
	v_mul_f16_e32 v55, 0xba95, v25
	v_add_f16_sdwa v52, v52, v8 dst_sel:DWORD dst_unused:UNUSED_PAD src0_sel:DWORD src1_sel:WORD_1
	v_mul_f16_e32 v53, 0xb3a8, v27
	v_fma_f16 v56, v35, s39, -v55
	v_fma_f16 v54, v36, s37, v53
	v_fma_f16 v53, v36, s37, -v53
	v_add_f16_e32 v52, v56, v52
	v_mul_f16_e32 v56, 0x3770, v25
	v_add_f16_sdwa v53, v53, v8 dst_sel:DWORD dst_unused:UNUSED_PAD src0_sel:DWORD src1_sel:WORD_1
	v_fma_f16 v57, v35, s40, v56
	v_fma_f16 v56, v35, s40, -v56
	v_sub_f16_e32 v24, v24, v34
	v_add_f16_e32 v6, v33, v6
	v_add_f16_sdwa v54, v54, v8 dst_sel:DWORD dst_unused:UNUSED_PAD src0_sel:DWORD src1_sel:WORD_1
	v_add_f16_e32 v53, v56, v53
	v_add_f16_e32 v33, v33, v15
	v_mul_f16_e32 v56, 0xbbf1, v24
	v_add_f16_e32 v54, v57, v54
	v_fma_f16 v57, v33, s36, -v56
	v_add_f16_e32 v52, v57, v52
	v_mul_f16_e32 v57, 0xb94e, v24
	v_fma_f16 v58, v33, s38, v57
	v_fma_f16 v57, v33, s38, -v57
	v_sub_f16_e32 v23, v23, v30
	v_add_f16_e32 v6, v32, v6
	v_add_f16_e32 v53, v57, v53
	;; [unrolled: 1-line block ×3, first 2 shown]
	v_mul_f16_e32 v57, 0xbb7b, v23
	v_add_f16_e32 v54, v58, v54
	v_fma_f16 v58, v32, s41, -v57
	v_pk_mul_f16 v62, v27, s30 op_sel_hi:[0,1]
	v_mul_f16_e32 v37, 0x388b, v35
	v_add_f16_e32 v52, v58, v52
	v_mul_f16_e32 v58, 0x3a95, v23
	v_pk_fma_f16 v63, v36, s28, v62 op_sel_hi:[0,1,1] neg_lo:[0,0,1] neg_hi:[0,0,1]
	v_pk_mul_f16 v64, v35, s26 op_sel_hi:[0,1]
	v_pk_mul_f16 v65, v25, s33 op_sel_hi:[0,1]
	v_fma_f16 v59, v32, s39, v58
	v_fma_f16 v58, v32, s39, -v58
	v_sub_f16_e32 v21, v21, v26
	v_pk_add_f16 v63, v63, v8 op_sel:[0,1]
	v_bfi_b32 v37, s35, v37, v64
	v_bfi_b32 v55, s35, v55, v65
	v_pk_fma_f16 v64, v35, s26, v65 op_sel_hi:[0,1,1] neg_lo:[0,0,1] neg_hi:[0,0,1]
	v_add_f16_e32 v6, v31, v6
	v_mul_f16_e32 v34, 0x2fb7, v33
	v_add_f16_e32 v53, v58, v53
	v_add_f16_e32 v31, v31, v18
	v_mul_f16_e32 v58, 0xb94e, v21
	v_pk_add_f16 v37, v37, v55
	v_pk_fma_f16 v55, v35, s26, v65 op_sel_hi:[0,1,1]
	v_pk_add_f16 v63, v64, v63
	v_pk_mul_f16 v64, v33, s25 op_sel_hi:[0,1]
	v_pk_mul_f16 v65, v24, s31 op_sel_hi:[0,1]
	v_add_f16_e32 v54, v59, v54
	v_fma_f16 v59, v31, s38, -v58
	v_bfi_b32 v34, s35, v34, v64
	v_bfi_b32 v56, s35, v56, v65
	v_pk_fma_f16 v64, v33, s25, v65 op_sel_hi:[0,1,1] neg_lo:[0,0,1] neg_hi:[0,0,1]
	v_mul_f16_e32 v30, 0xb5ac, v32
	v_add_f16_e32 v52, v59, v52
	v_mul_f16_e32 v59, 0xbb7b, v21
	v_pk_add_f16 v34, v34, v56
	v_pk_fma_f16 v56, v33, s25, v65 op_sel_hi:[0,1,1]
	v_pk_add_f16 v63, v64, v63
	v_pk_mul_f16 v64, v32, s23 op_sel_hi:[0,1]
	v_pk_mul_f16 v65, v23, s29 op_sel_hi:[0,1]
	v_fma_f16 v60, v31, s41, v59
	v_fma_f16 v59, v31, s41, -v59
	v_sub_f16_e32 v22, v20, v22
	v_bfi_b32 v30, s35, v30, v64
	v_bfi_b32 v57, s35, v57, v65
	v_mul_f16_e32 v7, 0x3b15, v36
	v_add_f16_e32 v53, v59, v53
	v_add_f16_e32 v59, v19, v17
	v_mul_f16_e32 v61, 0xb3a8, v22
	v_pk_add_f16 v30, v30, v57
	v_pk_fma_f16 v57, v32, s23, v65 op_sel_hi:[0,1,1]
	v_pk_fma_f16 v64, v32, s23, v65 op_sel_hi:[0,1,1] neg_lo:[0,0,1] neg_hi:[0,0,1]
	s_mov_b32 s23, 0x5040100
	v_fma_f16 v20, v59, s37, -v61
	v_perm_b32 v19, v38, v19, s23
	v_pack_b32_f16 v6, v6, v7
	v_add_f16_e32 v20, v20, v52
	v_pk_mul_f16 v52, v36, s28 op_sel_hi:[0,1]
	v_pk_add_f16 v6, v19, v6
	v_bfi_b32 v17, s35, v17, v8
	v_mul_f16_e32 v26, 0xb9fd, v31
	v_pk_add_f16 v63, v64, v63
	v_pk_mul_f16 v64, v31, s15 op_sel_hi:[0,1]
	v_pk_mul_f16 v65, v21, s27 op_sel_hi:[0,1]
	v_pk_add_f16 v7, v52, v62 op_sel:[1,1] op_sel_hi:[0,0]
	v_pk_add_f16 v6, v17, v6
	v_perm_b32 v17, v37, v18, s23
	v_bfi_b32 v26, s35, v26, v64
	v_bfi_b32 v58, s35, v58, v65
	v_pk_add_f16 v7, v8, v7 op_sel:[1,0]
	v_alignbit_b32 v18, v55, v37, 16
	v_pk_add_f16 v6, v17, v6
	v_perm_b32 v16, v34, v16, s23
	v_pk_add_f16 v26, v26, v58
	v_pk_add_f16 v7, v18, v7
	v_alignbit_b32 v17, v56, v34, 16
	v_pk_add_f16 v6, v16, v6
	v_perm_b32 v15, v30, v15, s23
	v_pk_fma_f16 v58, v31, s15, v65 op_sel_hi:[0,1,1]
	v_pk_add_f16 v7, v17, v7
	v_alignbit_b32 v16, v57, v30, 16
	v_pk_add_f16 v6, v15, v6
	v_perm_b32 v14, v26, v14, s23
	v_pk_add_f16 v7, v16, v7
	v_alignbit_b32 v15, v58, v26, 16
	v_pk_add_f16 v6, v14, v6
	v_pk_fma_f16 v14, v31, s15, v65 op_sel_hi:[0,1,1] neg_lo:[0,0,1] neg_hi:[0,0,1]
	v_add_f16_e32 v54, v60, v54
	v_mul_f16_e32 v60, 0xbbc4, v59
	v_pk_add_f16 v7, v15, v7
	v_pk_add_f16 v16, v14, v63
	v_pk_mul_f16 v14, v59, s14 op_sel_hi:[0,1]
	v_pk_mul_f16 v15, v22, s34 op_sel_hi:[0,1]
	v_bfi_b32 v14, s35, v60, v14
	v_bfi_b32 v17, s35, v61, v15
	v_pk_add_f16 v14, v14, v17
	v_pk_fma_f16 v17, v59, s14, v15 op_sel_hi:[0,1,1] neg_lo:[0,0,1] neg_hi:[0,0,1]
	v_pk_fma_f16 v15, v59, s14, v15 op_sel_hi:[0,1,1]
	v_perm_b32 v13, v14, v13, s23
	v_alignbit_b32 v14, v15, v14, 16
	v_pk_add_f16 v15, v14, v7
	v_pk_add_f16 v14, v13, v6
	v_pk_mul_f16 v6, v27, s16 op_sel_hi:[0,1]
	v_pk_add_f16 v7, v17, v16
	v_pk_fma_f16 v13, v36, s8, v6 op_sel_hi:[0,1,1] neg_lo:[0,0,1] neg_hi:[0,0,1]
	v_pk_mul_f16 v16, v25, s18 op_sel_hi:[0,1]
	v_pk_add_f16 v13, v13, v8 op_sel:[0,1]
	v_pk_fma_f16 v17, v35, s9, v16 op_sel_hi:[0,1,1] neg_lo:[0,0,1] neg_hi:[0,0,1]
	v_pk_add_f16 v13, v17, v13
	v_pk_mul_f16 v17, v24, s19 op_sel_hi:[0,1]
	v_pk_fma_f16 v18, v33, s12, v17 op_sel_hi:[0,1,1] neg_lo:[0,0,1] neg_hi:[0,0,1]
	v_pk_add_f16 v13, v18, v13
	v_pk_mul_f16 v18, v23, s21 op_sel_hi:[0,1]
	v_pk_fma_f16 v6, v36, s8, v6 op_sel_hi:[0,1,1]
	v_pk_fma_f16 v19, v32, s13, v18 op_sel_hi:[0,1,1] neg_lo:[0,0,1] neg_hi:[0,0,1]
	v_pk_add_f16 v6, v6, v8 op_sel:[0,1]
	v_pk_fma_f16 v8, v35, s9, v16 op_sel_hi:[0,1,1]
	v_pk_add_f16 v13, v19, v13
	v_pk_mul_f16 v19, v21, s22 op_sel_hi:[0,1]
	v_pk_add_f16 v6, v8, v6
	v_pk_fma_f16 v8, v33, s12, v17 op_sel_hi:[0,1,1]
	v_pk_fma_f16 v21, v31, s17, v19 op_sel_hi:[0,1,1] neg_lo:[0,0,1] neg_hi:[0,0,1]
	v_pk_add_f16 v6, v8, v6
	v_pk_fma_f16 v8, v32, s13, v18 op_sel_hi:[0,1,1]
	v_pk_add_f16 v13, v21, v13
	v_pk_mul_f16 v21, v22, s24 op_sel_hi:[0,1]
	v_pk_add_f16 v6, v8, v6
	v_pk_fma_f16 v8, v31, s17, v19 op_sel_hi:[0,1,1]
	v_pk_fma_f16 v23, v59, s20, v21 op_sel_hi:[0,1,1] neg_lo:[0,0,1] neg_hi:[0,0,1]
	v_pk_add_f16 v6, v8, v6
	v_pk_fma_f16 v8, v59, s20, v21 op_sel_hi:[0,1,1]
	v_pk_add_f16 v8, v8, v6
	v_pk_add_f16 v6, v23, v13
	v_mul_f16_e32 v13, 0x3bf1, v22
	v_fma_f16 v16, v59, s36, v13
	v_fma_f16 v13, v59, s36, -v13
	v_add_f16_e32 v16, v16, v54
	v_add_f16_e32 v13, v13, v53
	v_pack_b32_f16 v17, v16, v13
	v_alignbit_b32 v16, v8, v8, 16
	s_waitcnt lgkmcnt(0)
	; wave barrier
	s_waitcnt lgkmcnt(0)
	ds_write_b128 v47, v[14:17]
	ds_write_b64 v47, v[6:7] offset:16
	ds_write_b16 v47, v20 offset:24
	s_waitcnt lgkmcnt(0)
	; wave barrier
	s_waitcnt lgkmcnt(0)
	ds_read_u16 v8, v51
	ds_read_u16 v17, v48 offset:26
	ds_read_u16 v21, v48 offset:52
	;; [unrolled: 1-line block ×7, first 2 shown]
                                        ; implicit-def: $vgpr13
                                        ; implicit-def: $vgpr14
                                        ; implicit-def: $vgpr15
	s_and_saveexec_b64 s[6:7], s[0:1]
	s_cbranch_execz .LBB0_17
; %bb.16:
	v_add3_u32 v6, 0, v49, v50
	ds_read_u16 v6, v6
	ds_read_u16 v7, v48 offset:42
	ds_read_u16 v24, v48 offset:68
	;; [unrolled: 1-line block ×7, first 2 shown]
	s_waitcnt lgkmcnt(6)
	v_perm_b32 v6, v7, v6, s23
	s_waitcnt lgkmcnt(4)
	v_perm_b32 v7, v25, v24, s23
.LBB0_17:
	s_or_b64 exec, exec, s[6:7]
	s_and_saveexec_b64 s[0:1], vcc
	s_cbranch_execz .LBB0_20
; %bb.18:
	v_mul_u32_u24_e32 v24, 7, v10
	v_lshlrev_b32_e32 v33, 2, v24
	global_load_dwordx4 v[24:27], v33, s[4:5]
	global_load_dwordx3 v[30:32], v33, s[4:5] offset:16
	v_mul_lo_u32 v33, s3, v4
	v_mul_lo_u32 v34, s2, v5
	v_mad_u64_u32 v[4:5], s[0:1], s2, v4, 0
	v_add3_u32 v5, v5, v34, v33
	s_movk_i32 s0, 0x39a8
	s_mov_b32 s1, 0xb9a8
	s_mov_b32 s2, 0x4ec4ec4f
	v_lshl_add_u64 v[4:5], v[4:5], 2, s[10:11]
	v_lshl_add_u64 v[2:3], v[2:3], 2, v[4:5]
	v_mov_b32_e32 v5, 0
	s_waitcnt vmcnt(1) lgkmcnt(3)
	v_mul_f16_sdwa v33, v16, v27 dst_sel:DWORD dst_unused:UNUSED_PAD src0_sel:DWORD src1_sel:WORD_1
	v_mul_f16_sdwa v34, v40, v25 dst_sel:DWORD dst_unused:UNUSED_PAD src0_sel:DWORD src1_sel:WORD_1
	s_waitcnt vmcnt(0)
	v_mul_f16_sdwa v35, v41, v31 dst_sel:DWORD dst_unused:UNUSED_PAD src0_sel:DWORD src1_sel:WORD_1
	v_mul_f16_sdwa v36, v17, v24 dst_sel:DWORD dst_unused:UNUSED_PAD src0_sel:DWORD src1_sel:WORD_1
	s_waitcnt lgkmcnt(2)
	v_mul_f16_sdwa v37, v18, v30 dst_sel:DWORD dst_unused:UNUSED_PAD src0_sel:DWORD src1_sel:WORD_1
	v_mul_f16_sdwa v38, v42, v26 dst_sel:DWORD dst_unused:UNUSED_PAD src0_sel:DWORD src1_sel:WORD_1
	;; [unrolled: 1-line block ×6, first 2 shown]
	s_waitcnt lgkmcnt(0)
	v_mul_f16_sdwa v51, v22, v32 dst_sel:DWORD dst_unused:UNUSED_PAD src0_sel:DWORD src1_sel:WORD_1
	v_mul_f16_sdwa v52, v46, v27 dst_sel:DWORD dst_unused:UNUSED_PAD src0_sel:DWORD src1_sel:WORD_1
	;; [unrolled: 1-line block ×4, first 2 shown]
	v_fma_f16 v33, v46, v27, -v33
	v_fma_f16 v21, v21, v25, v34
	v_fma_f16 v23, v23, v31, v35
	v_fma_f16 v34, v44, v24, -v36
	v_fma_f16 v35, v45, v30, -v37
	v_fma_f16 v19, v19, v26, v38
	v_fma_f16 v22, v22, v32, v47
	;; [unrolled: 1-line block ×4, first 2 shown]
	v_fma_f16 v24, v42, v26, -v50
	v_fma_f16 v26, v43, v32, -v51
	v_fma_f16 v16, v16, v27, v52
	v_fma_f16 v25, v40, v25, -v53
	v_fma_f16 v27, v41, v31, -v54
	v_sub_f16_e32 v30, v39, v33
	v_sub_f16_e32 v23, v21, v23
	;; [unrolled: 1-line block ×10, first 2 shown]
	v_add_f16_e32 v35, v18, v26
	v_add_f16_e32 v36, v16, v27
	v_fma_f16 v17, v17, 2.0, -v18
	v_fma_f16 v8, v8, 2.0, -v16
	;; [unrolled: 1-line block ×4, first 2 shown]
	v_fma_f16 v24, v33, s0, v32
	v_fma_f16 v18, v18, 2.0, -v35
	v_fma_f16 v16, v16, 2.0, -v36
	;; [unrolled: 1-line block ×4, first 2 shown]
	v_fma_f16 v26, v35, s0, v36
	v_fma_f16 v27, v30, 2.0, -v32
	v_fma_f16 v30, v31, 2.0, -v33
	v_fma_f16 v24, v35, s1, v24
	v_fma_f16 v35, v18, s1, v16
	v_fma_f16 v19, v19, 2.0, -v22
	v_fma_f16 v22, v34, 2.0, -v31
	v_fma_f16 v34, v30, s1, v27
	v_fma_f16 v30, v30, s0, v35
	;; [unrolled: 1-line block ×3, first 2 shown]
	v_fma_f16 v34, v16, 2.0, -v30
	v_mul_hi_u32 v16, v10, s2
	v_sub_f16_e32 v25, v37, v25
	v_sub_f16_e32 v19, v17, v19
	;; [unrolled: 1-line block ×4, first 2 shown]
	v_lshrrev_b32_e32 v16, 2, v16
	v_fma_f16 v37, v37, 2.0, -v25
	v_fma_f16 v22, v22, 2.0, -v23
	;; [unrolled: 1-line block ×4, first 2 shown]
	v_mul_lo_u32 v16, v16, 13
	v_sub_f16_e32 v31, v25, v19
	v_fma_f16 v19, v32, 2.0, -v24
	v_sub_f16_e32 v22, v37, v22
	v_sub_f16_e32 v32, v8, v17
	v_sub_u32_e32 v16, v10, v16
	v_fma_f16 v35, v37, 2.0, -v22
	v_fma_f16 v8, v8, 2.0, -v32
	v_lshlrev_b32_e32 v4, 2, v16
	v_fma_f16 v26, v33, s0, v26
	v_add_f16_e32 v33, v21, v23
	v_fma_f16 v27, v27, 2.0, -v18
	v_lshl_add_u64 v[16:17], v[2:3], 0, v[4:5]
	v_pack_b32_f16 v4, v35, v8
	v_fma_f16 v25, v25, 2.0, -v31
	v_fma_f16 v21, v21, 2.0, -v33
	global_store_dword v[16:17], v4, off
	v_pack_b32_f16 v4, v27, v34
	v_fma_f16 v23, v36, 2.0, -v26
	global_store_dword v[16:17], v4, off offset:52
	v_pack_b32_f16 v4, v25, v21
	global_store_dword v[16:17], v4, off offset:104
	v_pack_b32_f16 v4, v19, v23
	;; [unrolled: 2-line block ×5, first 2 shown]
	v_add_u32_e32 v8, 8, v10
	global_store_dword v[16:17], v4, off offset:312
	v_pack_b32_f16 v4, v24, v26
	v_cmp_gt_u32_e32 vcc, 13, v8
	global_store_dword v[16:17], v4, off offset:364
	s_and_b64 exec, exec, vcc
	s_cbranch_execz .LBB0_20
; %bb.19:
	v_add_u32_e32 v4, -5, v10
	v_cmp_gt_u32_e32 vcc, 13, v9
	v_lshrrev_b32_e32 v21, 16, v6
	v_lshrrev_b32_e32 v25, 16, v1
	v_cndmask_b32_e32 v4, v4, v9, vcc
	v_mul_i32_i24_e32 v4, 7, v4
	v_lshl_add_u64 v[26:27], v[4:5], 2, s[4:5]
	global_load_dwordx4 v[16:19], v[26:27], off
	global_load_dwordx3 v[22:24], v[26:27], off offset:16
	v_lshrrev_b32_e32 v4, 16, v0
	v_lshrrev_b32_e32 v26, 16, v7
	v_mov_b32_e32 v9, v5
	s_waitcnt vmcnt(1)
	v_mul_f16_sdwa v27, v21, v16 dst_sel:DWORD dst_unused:UNUSED_PAD src0_sel:DWORD src1_sel:WORD_1
	v_mul_f16_sdwa v30, v4, v16 dst_sel:DWORD dst_unused:UNUSED_PAD src0_sel:DWORD src1_sel:WORD_1
	;; [unrolled: 1-line block ×8, first 2 shown]
	s_waitcnt vmcnt(0)
	v_mul_f16_sdwa v37, v13, v22 dst_sel:DWORD dst_unused:UNUSED_PAD src0_sel:DWORD src1_sel:WORD_1
	v_mul_f16_sdwa v38, v12, v22 dst_sel:DWORD dst_unused:UNUSED_PAD src0_sel:DWORD src1_sel:WORD_1
	;; [unrolled: 1-line block ×6, first 2 shown]
	v_fma_f16 v4, v4, v16, -v27
	v_fma_f16 v16, v21, v16, v30
	v_fma_f16 v1, v1, v17, -v31
	v_fma_f16 v7, v7, v17, v32
	;; [unrolled: 2-line block ×7, first 2 shown]
	v_sub_f16_e32 v11, v0, v11
	v_sub_f16_e32 v19, v6, v19
	;; [unrolled: 1-line block ×8, first 2 shown]
	v_fma_f16 v0, v0, 2.0, -v11
	v_fma_f16 v6, v6, 2.0, -v19
	;; [unrolled: 1-line block ×8, first 2 shown]
	v_sub_f16_e32 v14, v11, v14
	v_sub_f16_e32 v15, v12, v15
	;; [unrolled: 1-line block ×6, first 2 shown]
	v_add_f16_e32 v20, v19, v20
	v_add_f16_e32 v21, v13, v21
	v_fma_f16 v22, v15, s0, v14
	v_fma_f16 v0, v0, 2.0, -v1
	v_fma_f16 v6, v6, 2.0, -v7
	;; [unrolled: 1-line block ×8, first 2 shown]
	v_fma_f16 v23, v21, s0, v20
	v_fma_f16 v21, v21, s1, v22
	v_sub_f16_e32 v22, v0, v4
	v_sub_f16_e32 v16, v6, v16
	v_fma_f16 v24, v12, s1, v11
	v_fma_f16 v25, v13, s1, v19
	v_sub_f16_e32 v18, v1, v18
	v_fma_f16 v4, v0, 2.0, -v22
	v_fma_f16 v6, v6, 2.0, -v16
	v_fma_f16 v15, v15, s0, v23
	v_fma_f16 v13, v13, s1, v24
	;; [unrolled: 1-line block ×3, first 2 shown]
	v_fma_f16 v23, v1, 2.0, -v18
	v_lshl_add_u64 v[0:1], v[8:9], 2, v[2:3]
	v_pack_b32_f16 v4, v4, v6
	v_fma_f16 v11, v11, 2.0, -v13
	v_fma_f16 v19, v19, 2.0, -v12
	global_store_dword v[0:1], v4, off
	v_add_u32_e32 v4, 21, v10
	v_add_f16_e32 v17, v7, v17
	v_lshl_add_u64 v[0:1], v[4:5], 2, v[2:3]
	v_pack_b32_f16 v4, v11, v19
	v_fma_f16 v7, v7, 2.0, -v17
	global_store_dword v[0:1], v4, off
	v_add_u32_e32 v4, 34, v10
	v_lshl_add_u64 v[0:1], v[4:5], 2, v[2:3]
	v_pack_b32_f16 v4, v23, v7
	v_fma_f16 v14, v14, 2.0, -v21
	v_fma_f16 v20, v20, 2.0, -v15
	global_store_dword v[0:1], v4, off
	v_add_u32_e32 v4, 47, v10
	v_lshl_add_u64 v[0:1], v[4:5], 2, v[2:3]
	v_pack_b32_f16 v4, v14, v20
	global_store_dword v[0:1], v4, off
	v_add_u32_e32 v4, 60, v10
	v_lshl_add_u64 v[0:1], v[4:5], 2, v[2:3]
	v_pack_b32_f16 v4, v22, v16
	;; [unrolled: 4-line block ×5, first 2 shown]
	global_store_dword v[0:1], v2, off
.LBB0_20:
	s_endpgm
	.section	.rodata,"a",@progbits
	.p2align	6, 0x0
	.amdhsa_kernel fft_rtc_fwd_len104_factors_13_8_wgs_64_tpt_8_halfLds_half_op_CI_CI_unitstride_sbrr_dirReg
		.amdhsa_group_segment_fixed_size 0
		.amdhsa_private_segment_fixed_size 0
		.amdhsa_kernarg_size 104
		.amdhsa_user_sgpr_count 2
		.amdhsa_user_sgpr_dispatch_ptr 0
		.amdhsa_user_sgpr_queue_ptr 0
		.amdhsa_user_sgpr_kernarg_segment_ptr 1
		.amdhsa_user_sgpr_dispatch_id 0
		.amdhsa_user_sgpr_kernarg_preload_length 0
		.amdhsa_user_sgpr_kernarg_preload_offset 0
		.amdhsa_user_sgpr_private_segment_size 0
		.amdhsa_uses_dynamic_stack 0
		.amdhsa_enable_private_segment 0
		.amdhsa_system_sgpr_workgroup_id_x 1
		.amdhsa_system_sgpr_workgroup_id_y 0
		.amdhsa_system_sgpr_workgroup_id_z 0
		.amdhsa_system_sgpr_workgroup_info 0
		.amdhsa_system_vgpr_workitem_id 0
		.amdhsa_next_free_vgpr 68
		.amdhsa_next_free_sgpr 43
		.amdhsa_accum_offset 68
		.amdhsa_reserve_vcc 1
		.amdhsa_float_round_mode_32 0
		.amdhsa_float_round_mode_16_64 0
		.amdhsa_float_denorm_mode_32 3
		.amdhsa_float_denorm_mode_16_64 3
		.amdhsa_dx10_clamp 1
		.amdhsa_ieee_mode 1
		.amdhsa_fp16_overflow 0
		.amdhsa_tg_split 0
		.amdhsa_exception_fp_ieee_invalid_op 0
		.amdhsa_exception_fp_denorm_src 0
		.amdhsa_exception_fp_ieee_div_zero 0
		.amdhsa_exception_fp_ieee_overflow 0
		.amdhsa_exception_fp_ieee_underflow 0
		.amdhsa_exception_fp_ieee_inexact 0
		.amdhsa_exception_int_div_zero 0
	.end_amdhsa_kernel
	.text
.Lfunc_end0:
	.size	fft_rtc_fwd_len104_factors_13_8_wgs_64_tpt_8_halfLds_half_op_CI_CI_unitstride_sbrr_dirReg, .Lfunc_end0-fft_rtc_fwd_len104_factors_13_8_wgs_64_tpt_8_halfLds_half_op_CI_CI_unitstride_sbrr_dirReg
                                        ; -- End function
	.section	.AMDGPU.csdata,"",@progbits
; Kernel info:
; codeLenInByte = 6644
; NumSgprs: 49
; NumVgprs: 68
; NumAgprs: 0
; TotalNumVgprs: 68
; ScratchSize: 0
; MemoryBound: 0
; FloatMode: 240
; IeeeMode: 1
; LDSByteSize: 0 bytes/workgroup (compile time only)
; SGPRBlocks: 6
; VGPRBlocks: 8
; NumSGPRsForWavesPerEU: 49
; NumVGPRsForWavesPerEU: 68
; AccumOffset: 68
; Occupancy: 7
; WaveLimiterHint : 1
; COMPUTE_PGM_RSRC2:SCRATCH_EN: 0
; COMPUTE_PGM_RSRC2:USER_SGPR: 2
; COMPUTE_PGM_RSRC2:TRAP_HANDLER: 0
; COMPUTE_PGM_RSRC2:TGID_X_EN: 1
; COMPUTE_PGM_RSRC2:TGID_Y_EN: 0
; COMPUTE_PGM_RSRC2:TGID_Z_EN: 0
; COMPUTE_PGM_RSRC2:TIDIG_COMP_CNT: 0
; COMPUTE_PGM_RSRC3_GFX90A:ACCUM_OFFSET: 16
; COMPUTE_PGM_RSRC3_GFX90A:TG_SPLIT: 0
	.text
	.p2alignl 6, 3212836864
	.fill 256, 4, 3212836864
	.type	__hip_cuid_6f044a006bcb2757,@object ; @__hip_cuid_6f044a006bcb2757
	.section	.bss,"aw",@nobits
	.globl	__hip_cuid_6f044a006bcb2757
__hip_cuid_6f044a006bcb2757:
	.byte	0                               ; 0x0
	.size	__hip_cuid_6f044a006bcb2757, 1

	.ident	"AMD clang version 19.0.0git (https://github.com/RadeonOpenCompute/llvm-project roc-6.4.0 25133 c7fe45cf4b819c5991fe208aaa96edf142730f1d)"
	.section	".note.GNU-stack","",@progbits
	.addrsig
	.addrsig_sym __hip_cuid_6f044a006bcb2757
	.amdgpu_metadata
---
amdhsa.kernels:
  - .agpr_count:     0
    .args:
      - .actual_access:  read_only
        .address_space:  global
        .offset:         0
        .size:           8
        .value_kind:     global_buffer
      - .offset:         8
        .size:           8
        .value_kind:     by_value
      - .actual_access:  read_only
        .address_space:  global
        .offset:         16
        .size:           8
        .value_kind:     global_buffer
      - .actual_access:  read_only
        .address_space:  global
        .offset:         24
        .size:           8
        .value_kind:     global_buffer
      - .actual_access:  read_only
        .address_space:  global
        .offset:         32
        .size:           8
        .value_kind:     global_buffer
      - .offset:         40
        .size:           8
        .value_kind:     by_value
      - .actual_access:  read_only
        .address_space:  global
        .offset:         48
        .size:           8
        .value_kind:     global_buffer
      - .actual_access:  read_only
        .address_space:  global
        .offset:         56
        .size:           8
        .value_kind:     global_buffer
      - .offset:         64
        .size:           4
        .value_kind:     by_value
      - .actual_access:  read_only
        .address_space:  global
        .offset:         72
        .size:           8
        .value_kind:     global_buffer
      - .actual_access:  read_only
        .address_space:  global
        .offset:         80
        .size:           8
        .value_kind:     global_buffer
      - .actual_access:  read_only
        .address_space:  global
        .offset:         88
        .size:           8
        .value_kind:     global_buffer
      - .actual_access:  write_only
        .address_space:  global
        .offset:         96
        .size:           8
        .value_kind:     global_buffer
    .group_segment_fixed_size: 0
    .kernarg_segment_align: 8
    .kernarg_segment_size: 104
    .language:       OpenCL C
    .language_version:
      - 2
      - 0
    .max_flat_workgroup_size: 64
    .name:           fft_rtc_fwd_len104_factors_13_8_wgs_64_tpt_8_halfLds_half_op_CI_CI_unitstride_sbrr_dirReg
    .private_segment_fixed_size: 0
    .sgpr_count:     49
    .sgpr_spill_count: 0
    .symbol:         fft_rtc_fwd_len104_factors_13_8_wgs_64_tpt_8_halfLds_half_op_CI_CI_unitstride_sbrr_dirReg.kd
    .uniform_work_group_size: 1
    .uses_dynamic_stack: false
    .vgpr_count:     68
    .vgpr_spill_count: 0
    .wavefront_size: 64
amdhsa.target:   amdgcn-amd-amdhsa--gfx950
amdhsa.version:
  - 1
  - 2
...

	.end_amdgpu_metadata
